;; amdgpu-corpus repo=ROCm/rocFFT kind=compiled arch=gfx1030 opt=O3
	.text
	.amdgcn_target "amdgcn-amd-amdhsa--gfx1030"
	.amdhsa_code_object_version 6
	.protected	fft_rtc_fwd_len585_factors_13_5_9_wgs_195_tpt_65_sp_ip_CI_unitstride_sbrr_dirReg ; -- Begin function fft_rtc_fwd_len585_factors_13_5_9_wgs_195_tpt_65_sp_ip_CI_unitstride_sbrr_dirReg
	.globl	fft_rtc_fwd_len585_factors_13_5_9_wgs_195_tpt_65_sp_ip_CI_unitstride_sbrr_dirReg
	.p2align	8
	.type	fft_rtc_fwd_len585_factors_13_5_9_wgs_195_tpt_65_sp_ip_CI_unitstride_sbrr_dirReg,@function
fft_rtc_fwd_len585_factors_13_5_9_wgs_195_tpt_65_sp_ip_CI_unitstride_sbrr_dirReg: ; @fft_rtc_fwd_len585_factors_13_5_9_wgs_195_tpt_65_sp_ip_CI_unitstride_sbrr_dirReg
; %bb.0:
	s_load_dwordx4 s[8:11], s[4:5], 0x0
	v_mul_u32_u24_e32 v1, 0x3f1, v0
	s_clause 0x1
	s_load_dwordx2 s[2:3], s[4:5], 0x50
	s_load_dwordx2 s[12:13], s[4:5], 0x18
	v_mov_b32_e32 v3, 0
	v_lshrrev_b32_e32 v1, 16, v1
	v_mad_u64_u32 v[13:14], null, s6, 3, v[1:2]
	v_mov_b32_e32 v14, v3
	v_mov_b32_e32 v1, 0
	;; [unrolled: 1-line block ×5, first 2 shown]
	s_waitcnt lgkmcnt(0)
	v_cmp_lt_u64_e64 s0, s[10:11], 2
	s_and_b32 vcc_lo, exec_lo, s0
	s_cbranch_vccnz .LBB0_8
; %bb.1:
	s_load_dwordx2 s[0:1], s[4:5], 0x10
	v_mov_b32_e32 v1, 0
	v_mov_b32_e32 v5, v13
	s_add_u32 s6, s12, 8
	v_mov_b32_e32 v2, 0
	v_mov_b32_e32 v6, v14
	s_addc_u32 s7, s13, 0
	s_mov_b64 s[16:17], 1
	s_waitcnt lgkmcnt(0)
	s_add_u32 s14, s0, 8
	s_addc_u32 s15, s1, 0
.LBB0_2:                                ; =>This Inner Loop Header: Depth=1
	s_load_dwordx2 s[18:19], s[14:15], 0x0
                                        ; implicit-def: $vgpr15_vgpr16
	s_mov_b32 s0, exec_lo
	s_waitcnt lgkmcnt(0)
	v_or_b32_e32 v4, s19, v6
	v_cmpx_ne_u64_e32 0, v[3:4]
	s_xor_b32 s1, exec_lo, s0
	s_cbranch_execz .LBB0_4
; %bb.3:                                ;   in Loop: Header=BB0_2 Depth=1
	v_cvt_f32_u32_e32 v4, s18
	v_cvt_f32_u32_e32 v7, s19
	s_sub_u32 s0, 0, s18
	s_subb_u32 s20, 0, s19
	v_fmac_f32_e32 v4, 0x4f800000, v7
	v_rcp_f32_e32 v4, v4
	v_mul_f32_e32 v4, 0x5f7ffffc, v4
	v_mul_f32_e32 v7, 0x2f800000, v4
	v_trunc_f32_e32 v7, v7
	v_fmac_f32_e32 v4, 0xcf800000, v7
	v_cvt_u32_f32_e32 v7, v7
	v_cvt_u32_f32_e32 v4, v4
	v_mul_lo_u32 v8, s0, v7
	v_mul_hi_u32 v9, s0, v4
	v_mul_lo_u32 v10, s20, v4
	v_add_nc_u32_e32 v8, v9, v8
	v_mul_lo_u32 v9, s0, v4
	v_add_nc_u32_e32 v8, v8, v10
	v_mul_hi_u32 v10, v4, v9
	v_mul_lo_u32 v11, v4, v8
	v_mul_hi_u32 v12, v4, v8
	v_mul_hi_u32 v14, v7, v9
	v_mul_lo_u32 v9, v7, v9
	v_mul_hi_u32 v15, v7, v8
	v_mul_lo_u32 v8, v7, v8
	v_add_co_u32 v10, vcc_lo, v10, v11
	v_add_co_ci_u32_e32 v11, vcc_lo, 0, v12, vcc_lo
	v_add_co_u32 v9, vcc_lo, v10, v9
	v_add_co_ci_u32_e32 v9, vcc_lo, v11, v14, vcc_lo
	v_add_co_ci_u32_e32 v10, vcc_lo, 0, v15, vcc_lo
	v_add_co_u32 v8, vcc_lo, v9, v8
	v_add_co_ci_u32_e32 v9, vcc_lo, 0, v10, vcc_lo
	v_add_co_u32 v4, vcc_lo, v4, v8
	v_add_co_ci_u32_e32 v7, vcc_lo, v7, v9, vcc_lo
	v_mul_hi_u32 v8, s0, v4
	v_mul_lo_u32 v10, s20, v4
	v_mul_lo_u32 v9, s0, v7
	v_add_nc_u32_e32 v8, v8, v9
	v_mul_lo_u32 v9, s0, v4
	v_add_nc_u32_e32 v8, v8, v10
	v_mul_hi_u32 v10, v4, v9
	v_mul_lo_u32 v11, v4, v8
	v_mul_hi_u32 v12, v4, v8
	v_mul_hi_u32 v14, v7, v9
	v_mul_lo_u32 v9, v7, v9
	v_mul_hi_u32 v15, v7, v8
	v_mul_lo_u32 v8, v7, v8
	v_add_co_u32 v10, vcc_lo, v10, v11
	v_add_co_ci_u32_e32 v11, vcc_lo, 0, v12, vcc_lo
	v_add_co_u32 v9, vcc_lo, v10, v9
	v_add_co_ci_u32_e32 v9, vcc_lo, v11, v14, vcc_lo
	v_add_co_ci_u32_e32 v10, vcc_lo, 0, v15, vcc_lo
	v_add_co_u32 v8, vcc_lo, v9, v8
	v_add_co_ci_u32_e32 v9, vcc_lo, 0, v10, vcc_lo
	v_add_co_u32 v4, vcc_lo, v4, v8
	v_add_co_ci_u32_e32 v11, vcc_lo, v7, v9, vcc_lo
	v_mul_hi_u32 v14, v5, v4
	v_mad_u64_u32 v[9:10], null, v6, v4, 0
	v_mad_u64_u32 v[7:8], null, v5, v11, 0
	v_mad_u64_u32 v[11:12], null, v6, v11, 0
	v_add_co_u32 v4, vcc_lo, v14, v7
	v_add_co_ci_u32_e32 v7, vcc_lo, 0, v8, vcc_lo
	v_add_co_u32 v4, vcc_lo, v4, v9
	v_add_co_ci_u32_e32 v4, vcc_lo, v7, v10, vcc_lo
	v_add_co_ci_u32_e32 v7, vcc_lo, 0, v12, vcc_lo
	v_add_co_u32 v4, vcc_lo, v4, v11
	v_add_co_ci_u32_e32 v9, vcc_lo, 0, v7, vcc_lo
	v_mul_lo_u32 v10, s19, v4
	v_mad_u64_u32 v[7:8], null, s18, v4, 0
	v_mul_lo_u32 v11, s18, v9
	v_sub_co_u32 v7, vcc_lo, v5, v7
	v_add3_u32 v8, v8, v11, v10
	v_sub_nc_u32_e32 v10, v6, v8
	v_subrev_co_ci_u32_e64 v10, s0, s19, v10, vcc_lo
	v_add_co_u32 v11, s0, v4, 2
	v_add_co_ci_u32_e64 v12, s0, 0, v9, s0
	v_sub_co_u32 v14, s0, v7, s18
	v_sub_co_ci_u32_e32 v8, vcc_lo, v6, v8, vcc_lo
	v_subrev_co_ci_u32_e64 v10, s0, 0, v10, s0
	v_cmp_le_u32_e32 vcc_lo, s18, v14
	v_cmp_eq_u32_e64 s0, s19, v8
	v_cndmask_b32_e64 v14, 0, -1, vcc_lo
	v_cmp_le_u32_e32 vcc_lo, s19, v10
	v_cndmask_b32_e64 v15, 0, -1, vcc_lo
	v_cmp_le_u32_e32 vcc_lo, s18, v7
	;; [unrolled: 2-line block ×3, first 2 shown]
	v_cndmask_b32_e64 v16, 0, -1, vcc_lo
	v_cmp_eq_u32_e32 vcc_lo, s19, v10
	v_cndmask_b32_e64 v7, v16, v7, s0
	v_cndmask_b32_e32 v10, v15, v14, vcc_lo
	v_add_co_u32 v14, vcc_lo, v4, 1
	v_add_co_ci_u32_e32 v15, vcc_lo, 0, v9, vcc_lo
	v_cmp_ne_u32_e32 vcc_lo, 0, v10
	v_cndmask_b32_e32 v8, v15, v12, vcc_lo
	v_cndmask_b32_e32 v10, v14, v11, vcc_lo
	v_cmp_ne_u32_e32 vcc_lo, 0, v7
	v_cndmask_b32_e32 v16, v9, v8, vcc_lo
	v_cndmask_b32_e32 v15, v4, v10, vcc_lo
.LBB0_4:                                ;   in Loop: Header=BB0_2 Depth=1
	s_andn2_saveexec_b32 s0, s1
	s_cbranch_execz .LBB0_6
; %bb.5:                                ;   in Loop: Header=BB0_2 Depth=1
	v_cvt_f32_u32_e32 v4, s18
	s_sub_i32 s1, 0, s18
	v_mov_b32_e32 v16, v3
	v_rcp_iflag_f32_e32 v4, v4
	v_mul_f32_e32 v4, 0x4f7ffffe, v4
	v_cvt_u32_f32_e32 v4, v4
	v_mul_lo_u32 v7, s1, v4
	v_mul_hi_u32 v7, v4, v7
	v_add_nc_u32_e32 v4, v4, v7
	v_mul_hi_u32 v4, v5, v4
	v_mul_lo_u32 v7, v4, s18
	v_add_nc_u32_e32 v8, 1, v4
	v_sub_nc_u32_e32 v7, v5, v7
	v_subrev_nc_u32_e32 v9, s18, v7
	v_cmp_le_u32_e32 vcc_lo, s18, v7
	v_cndmask_b32_e32 v7, v7, v9, vcc_lo
	v_cndmask_b32_e32 v4, v4, v8, vcc_lo
	v_cmp_le_u32_e32 vcc_lo, s18, v7
	v_add_nc_u32_e32 v8, 1, v4
	v_cndmask_b32_e32 v15, v4, v8, vcc_lo
.LBB0_6:                                ;   in Loop: Header=BB0_2 Depth=1
	s_or_b32 exec_lo, exec_lo, s0
	s_load_dwordx2 s[0:1], s[6:7], 0x0
	v_mul_lo_u32 v4, v16, s18
	v_mul_lo_u32 v9, v15, s19
	v_mad_u64_u32 v[7:8], null, v15, s18, 0
	s_add_u32 s16, s16, 1
	s_addc_u32 s17, s17, 0
	s_add_u32 s6, s6, 8
	s_addc_u32 s7, s7, 0
	;; [unrolled: 2-line block ×3, first 2 shown]
	v_add3_u32 v4, v8, v9, v4
	v_sub_co_u32 v5, vcc_lo, v5, v7
	v_sub_co_ci_u32_e32 v4, vcc_lo, v6, v4, vcc_lo
	s_waitcnt lgkmcnt(0)
	v_mul_lo_u32 v6, s1, v5
	v_mul_lo_u32 v4, s0, v4
	v_mad_u64_u32 v[1:2], null, s0, v5, v[1:2]
	v_cmp_ge_u64_e64 s0, s[16:17], s[10:11]
	s_and_b32 vcc_lo, exec_lo, s0
	v_add3_u32 v2, v6, v2, v4
	s_cbranch_vccnz .LBB0_8
; %bb.7:                                ;   in Loop: Header=BB0_2 Depth=1
	v_mov_b32_e32 v5, v15
	v_mov_b32_e32 v6, v16
	s_branch .LBB0_2
.LBB0_8:
	s_lshl_b64 s[0:1], s[10:11], 3
	v_mul_hi_u32 v3, 0x3f03f04, v0
	s_add_u32 s0, s12, s0
	s_addc_u32 s1, s13, s1
	v_mov_b32_e32 v10, 0
	s_load_dwordx2 s[0:1], s[0:1], 0x0
	s_load_dwordx2 s[4:5], s[4:5], 0x20
                                        ; implicit-def: $vgpr39
                                        ; implicit-def: $vgpr37
                                        ; implicit-def: $vgpr35
                                        ; implicit-def: $vgpr33
                                        ; implicit-def: $vgpr31
                                        ; implicit-def: $vgpr29
                                        ; implicit-def: $vgpr7
                                        ; implicit-def: $vgpr23
                                        ; implicit-def: $vgpr25
                                        ; implicit-def: $vgpr27
	s_waitcnt lgkmcnt(0)
	v_mul_lo_u32 v4, s0, v16
	v_mul_lo_u32 v5, s1, v15
	v_mad_u64_u32 v[8:9], null, s0, v15, v[1:2]
	v_mul_u32_u24_e32 v2, 0x41, v3
	v_cmp_gt_u64_e32 vcc_lo, s[4:5], v[15:16]
	v_mov_b32_e32 v1, 0
                                        ; implicit-def: $vgpr3
	v_sub_nc_u32_e32 v11, v0, v2
	v_add3_u32 v9, v5, v9, v4
	v_mov_b32_e32 v0, 0
                                        ; implicit-def: $vgpr5
	s_and_saveexec_b32 s1, vcc_lo
	s_cbranch_execz .LBB0_12
; %bb.9:
	v_mov_b32_e32 v0, 0
	v_mov_b32_e32 v1, 0
	s_mov_b32 s4, exec_lo
                                        ; implicit-def: $vgpr26
                                        ; implicit-def: $vgpr24
                                        ; implicit-def: $vgpr22
                                        ; implicit-def: $vgpr6
                                        ; implicit-def: $vgpr4
                                        ; implicit-def: $vgpr2
                                        ; implicit-def: $vgpr28
                                        ; implicit-def: $vgpr30
                                        ; implicit-def: $vgpr32
                                        ; implicit-def: $vgpr34
                                        ; implicit-def: $vgpr36
                                        ; implicit-def: $vgpr38
	v_cmpx_gt_u32_e32 45, v11
	s_cbranch_execz .LBB0_11
; %bb.10:
	v_mov_b32_e32 v12, 0
	v_lshlrev_b64 v[0:1], 3, v[8:9]
	v_lshlrev_b64 v[2:3], 3, v[11:12]
	v_add_co_u32 v0, s0, s2, v0
	v_add_co_ci_u32_e64 v1, s0, s3, v1, s0
	v_add_co_u32 v2, s0, v0, v2
	v_add_co_ci_u32_e64 v3, s0, v1, v3, s0
	v_add_co_u32 v4, s0, 0x800, v2
	v_add_co_ci_u32_e64 v5, s0, 0, v3, s0
	s_clause 0x7
	global_load_dwordx2 v[0:1], v[2:3], off
	global_load_dwordx2 v[38:39], v[2:3], off offset:360
	global_load_dwordx2 v[36:37], v[2:3], off offset:720
	global_load_dwordx2 v[34:35], v[2:3], off offset:1080
	global_load_dwordx2 v[32:33], v[2:3], off offset:1440
	global_load_dwordx2 v[30:31], v[2:3], off offset:1800
	global_load_dwordx2 v[28:29], v[4:5], off offset:112
	global_load_dwordx2 v[26:27], v[4:5], off offset:472
	v_add_co_u32 v2, s0, 0x1000, v2
	v_add_co_ci_u32_e64 v3, s0, 0, v3, s0
	s_clause 0x4
	global_load_dwordx2 v[24:25], v[4:5], off offset:832
	global_load_dwordx2 v[22:23], v[4:5], off offset:1192
	;; [unrolled: 1-line block ×5, first 2 shown]
.LBB0_11:
	s_or_b32 exec_lo, exec_lo, s4
	v_mov_b32_e32 v10, v11
.LBB0_12:
	s_or_b32 exec_lo, exec_lo, s1
	s_waitcnt vmcnt(0)
	v_add_f32_e32 v50, v38, v2
	v_sub_f32_e32 v52, v38, v2
	v_sub_f32_e32 v41, v39, v3
	v_add_f32_e32 v53, v36, v4
	v_add_f32_e32 v42, v39, v3
	v_mul_f32_e32 v65, 0xbeb58ec6, v50
	v_mul_f32_e32 v66, 0xbf6f5d39, v52
	v_sub_f32_e32 v56, v36, v4
	v_sub_f32_e32 v43, v37, v5
	v_mul_f32_e32 v67, 0xbf3f9e67, v53
	v_fmamk_f32 v14, v41, 0xbf6f5d39, v65
	v_fma_f32 v15, 0xbeb58ec6, v42, -v66
	v_add_f32_e32 v57, v34, v6
	v_add_f32_e32 v45, v37, v5
	v_fmamk_f32 v16, v43, 0x3f29c268, v67
	v_add_f32_e32 v14, v0, v14
	v_mul_f32_e32 v69, 0x3f29c268, v56
	v_sub_f32_e32 v58, v34, v6
	v_add_f32_e32 v15, v1, v15
	v_sub_f32_e32 v44, v35, v7
	v_mul_f32_e32 v68, 0x3f62ad3f, v57
	v_add_f32_e32 v14, v14, v16
	v_fma_f32 v16, 0xbf3f9e67, v45, -v69
	v_add_f32_e32 v46, v35, v7
	v_mul_f32_e32 v70, 0x3eedf032, v58
	v_add_f32_e32 v59, v32, v22
	v_fmamk_f32 v17, v44, 0x3eedf032, v68
	v_add_f32_e32 v15, v15, v16
	v_sub_f32_e32 v60, v32, v22
	v_fma_f32 v16, 0x3f62ad3f, v46, -v70
	v_sub_f32_e32 v47, v33, v23
	v_mul_f32_e32 v71, 0x3df6dbef, v59
	v_add_f32_e32 v61, v30, v24
	v_mul_hi_u32 v12, 0xaaaaaaab, v13
	v_add_f32_e32 v14, v14, v17
	v_add_f32_e32 v48, v33, v23
	v_mul_f32_e32 v74, 0xbf7e222b, v60
	v_add_f32_e32 v15, v15, v16
	v_fmamk_f32 v16, v47, 0xbf7e222b, v71
	v_sub_f32_e32 v49, v31, v25
	v_mul_f32_e32 v73, 0xbf788fa5, v61
	v_sub_f32_e32 v62, v30, v24
	v_add_f32_e32 v63, v28, v26
	v_lshrrev_b32_e32 v12, 1, v12
	v_fma_f32 v17, 0x3df6dbef, v48, -v74
	v_add_f32_e32 v14, v14, v16
	v_fmamk_f32 v16, v49, 0x3e750f2a, v73
	v_add_f32_e32 v54, v31, v25
	v_mul_f32_e32 v75, 0x3e750f2a, v62
	v_sub_f32_e32 v51, v29, v27
	v_mul_f32_e32 v72, 0x3f116cb1, v63
	v_lshl_add_u32 v12, v12, 1, v12
	v_add_f32_e32 v15, v15, v17
	v_fma_f32 v17, 0xbf788fa5, v54, -v75
	v_add_f32_e32 v14, v14, v16
	v_fmamk_f32 v16, v51, 0x3f52af12, v72
	v_sub_nc_u32_e32 v19, v13, v12
	v_mul_f32_e32 v20, 0x3f7e222b, v56
	v_add_f32_e32 v13, v15, v17
	v_mul_f32_e32 v15, 0xbf3f9e67, v50
	v_add_f32_e32 v12, v14, v16
	v_mul_f32_e32 v14, 0xbf29c268, v52
	v_mul_f32_e32 v17, 0x3df6dbef, v53
	v_sub_f32_e32 v64, v28, v26
	v_fmamk_f32 v16, v41, 0x3f29c268, v15
	v_fmamk_f32 v40, v45, 0x3df6dbef, v20
	;; [unrolled: 1-line block ×4, first 2 shown]
	v_mul_f32_e32 v77, 0x3f116cb1, v57
	v_add_f32_e32 v16, v0, v16
	v_mul_f32_e32 v79, 0xbf52af12, v58
	v_add_f32_e32 v18, v1, v18
	v_add_f32_e32 v55, v29, v27
	v_mul_f32_e32 v76, 0x3f52af12, v64
	v_add_f32_e32 v16, v16, v21
	v_fmamk_f32 v21, v44, 0x3f52af12, v77
	v_add_f32_e32 v18, v18, v40
	v_mul_f32_e32 v40, 0xbf788fa5, v59
	v_fmamk_f32 v80, v46, 0x3f116cb1, v79
	v_fma_f32 v78, 0x3f116cb1, v55, -v76
	v_mul_f32_e32 v81, 0x3e750f2a, v60
	v_add_f32_e32 v16, v16, v21
	v_fmamk_f32 v21, v47, 0xbe750f2a, v40
	v_add_f32_e32 v18, v18, v80
	v_mul_f32_e32 v80, 0x3f62ad3f, v61
	v_add_f32_e32 v13, v13, v78
	v_fmamk_f32 v78, v48, 0xbf788fa5, v81
	v_fmac_f32_e32 v15, 0xbf29c268, v41
	v_add_f32_e32 v16, v16, v21
	v_fma_f32 v14, 0xbf3f9e67, v42, -v14
	v_fmamk_f32 v21, v49, 0xbeedf032, v80
	v_add_f32_e32 v18, v18, v78
	v_add_f32_e32 v15, v0, v15
	v_fmac_f32_e32 v17, 0x3f7e222b, v43
	v_add_f32_e32 v14, v1, v14
	v_fma_f32 v20, 0x3df6dbef, v45, -v20
	v_add_f32_e32 v16, v16, v21
	v_mul_f32_e32 v21, 0x3eedf032, v62
	v_mul_f32_e32 v78, 0xbeb58ec6, v63
	v_add_f32_e32 v15, v15, v17
	v_add_f32_e32 v14, v14, v20
	v_fmac_f32_e32 v77, 0xbf52af12, v44
	v_fma_f32 v17, 0x3f116cb1, v46, -v79
	v_fmamk_f32 v20, v54, 0x3f62ad3f, v21
	v_fmamk_f32 v79, v51, 0x3f6f5d39, v78
	v_mul_f32_e32 v82, 0xbf6f5d39, v64
	v_add_f32_e32 v15, v15, v77
	v_add_f32_e32 v17, v14, v17
	v_fmac_f32_e32 v40, 0x3e750f2a, v47
	v_fma_f32 v77, 0xbf788fa5, v48, -v81
	v_add_f32_e32 v18, v18, v20
	v_add_f32_e32 v14, v16, v79
	v_fmamk_f32 v16, v55, 0xbeb58ec6, v82
	v_add_f32_e32 v20, v15, v40
	v_add_f32_e32 v17, v17, v77
	v_fmac_f32_e32 v80, 0x3eedf032, v49
	v_fma_f32 v21, 0x3f62ad3f, v54, -v21
	v_mul_f32_e32 v40, 0xbf788fa5, v50
	v_add_f32_e32 v15, v18, v16
	v_mul_f32_e32 v18, 0xbe750f2a, v52
	v_add_f32_e32 v16, v20, v80
	v_add_f32_e32 v17, v17, v21
	v_fmamk_f32 v20, v41, 0x3e750f2a, v40
	v_mul_f32_e32 v21, 0x3f62ad3f, v53
	v_fmamk_f32 v77, v42, 0xbf788fa5, v18
	v_mul_f32_e32 v79, 0x3eedf032, v56
	v_fmac_f32_e32 v78, 0xbf6f5d39, v51
	v_add_f32_e32 v20, v0, v20
	v_fmamk_f32 v80, v43, 0xbeedf032, v21
	v_add_f32_e32 v77, v1, v77
	v_fmamk_f32 v81, v45, 0x3f62ad3f, v79
	v_mul_f32_e32 v83, 0xbf3f9e67, v57
	v_mul_f32_e32 v84, 0xbf29c268, v58
	v_fmac_f32_e32 v40, 0xbe750f2a, v41
	v_fma_f32 v18, 0xbf788fa5, v42, -v18
	v_fma_f32 v82, 0xbeb58ec6, v55, -v82
	v_add_f32_e32 v20, v20, v80
	v_add_f32_e32 v77, v77, v81
	v_fmamk_f32 v80, v44, 0x3f29c268, v83
	v_fmamk_f32 v81, v46, 0xbf3f9e67, v84
	v_add_f32_e32 v16, v16, v78
	v_mul_f32_e32 v78, 0x3f116cb1, v59
	v_add_f32_e32 v40, v0, v40
	v_fmac_f32_e32 v21, 0x3eedf032, v43
	v_add_f32_e32 v18, v1, v18
	v_fma_f32 v79, 0x3f62ad3f, v45, -v79
	v_add_f32_e32 v17, v17, v82
	v_add_f32_e32 v20, v20, v80
	;; [unrolled: 1-line block ×3, first 2 shown]
	v_fmamk_f32 v80, v47, 0xbf52af12, v78
	v_mul_f32_e32 v81, 0x3f52af12, v60
	v_mul_f32_e32 v82, 0xbeb58ec6, v61
	v_add_f32_e32 v21, v40, v21
	v_add_f32_e32 v18, v18, v79
	v_fmac_f32_e32 v83, 0xbf29c268, v44
	v_fma_f32 v40, 0xbf3f9e67, v46, -v84
	v_add_f32_e32 v20, v20, v80
	v_fmamk_f32 v80, v48, 0x3f116cb1, v81
	v_fmamk_f32 v85, v49, 0x3f6f5d39, v82
	v_mul_f32_e32 v79, 0xbf6f5d39, v62
	v_add_f32_e32 v21, v21, v83
	v_add_f32_e32 v18, v18, v40
	v_fmac_f32_e32 v78, 0x3f52af12, v47
	v_fma_f32 v40, 0x3f116cb1, v48, -v81
	v_mul_f32_e32 v81, 0x3df6dbef, v63
	v_add_f32_e32 v77, v77, v80
	v_add_f32_e32 v20, v20, v85
	v_fmamk_f32 v80, v54, 0xbeb58ec6, v79
	v_mul_f32_e32 v83, 0x3f7e222b, v64
	v_add_f32_e32 v21, v21, v78
	v_add_f32_e32 v18, v18, v40
	v_fmac_f32_e32 v82, 0xbf6f5d39, v49
	v_fma_f32 v40, 0xbeb58ec6, v54, -v79
	v_fmamk_f32 v78, v51, 0xbf7e222b, v81
	v_add_f32_e32 v77, v77, v80
	v_fmamk_f32 v79, v55, 0x3df6dbef, v83
	v_add_f32_e32 v21, v21, v82
	v_add_f32_e32 v40, v18, v40
	v_fmac_f32_e32 v81, 0x3f7e222b, v51
	v_fma_f32 v80, 0x3df6dbef, v55, -v83
	v_add_f32_e32 v18, v20, v78
	v_mul_u32_u24_e32 v78, 0x249, v19
	v_add_f32_e32 v19, v77, v79
	v_add_f32_e32 v20, v21, v81
	;; [unrolled: 1-line block ×3, first 2 shown]
	s_mov_b32 s1, exec_lo
	v_lshlrev_b32_e32 v40, 3, v78
	v_cmpx_gt_u32_e32 45, v11
	s_cbranch_execz .LBB0_14
; %bb.13:
	v_mul_f32_e32 v77, 0xbeb58ec6, v42
	v_mul_f32_e32 v78, 0xbf6f5d39, v41
	v_mul_f32_e32 v80, 0xbf3f9e67, v45
	v_mul_f32_e32 v79, 0x3f29c268, v43
	v_mul_f32_e32 v81, 0x3eedf032, v44
	v_add_f32_e32 v66, v77, v66
	v_mul_f32_e32 v77, 0x3f62ad3f, v46
	v_add_f32_e32 v69, v80, v69
	v_sub_f32_e32 v65, v65, v78
	v_mul_f32_e32 v83, 0x3df6dbef, v48
	v_add_f32_e32 v66, v1, v66
	v_add_f32_e32 v70, v77, v70
	v_sub_f32_e32 v67, v67, v79
	v_add_f32_e32 v65, v0, v65
	v_mul_f32_e32 v82, 0xbf7e222b, v47
	v_add_f32_e32 v66, v66, v69
	v_mul_f32_e32 v84, 0xbf788fa5, v54
	v_add_f32_e32 v74, v83, v74
	v_sub_f32_e32 v68, v68, v81
	v_add_f32_e32 v65, v65, v67
	v_add_f32_e32 v66, v66, v70
	v_mul_f32_e32 v70, 0x3f116cb1, v55
	v_mul_f32_e32 v80, 0x3e750f2a, v49
	v_add_f32_e32 v75, v84, v75
	v_add_f32_e32 v65, v65, v68
	;; [unrolled: 1-line block ×3, first 2 shown]
	v_mul_f32_e32 v74, 0xbf7e222b, v52
	v_add_f32_e32 v67, v70, v76
	v_sub_f32_e32 v70, v71, v82
	v_mul_f32_e32 v71, 0xbe750f2a, v56
	v_add_f32_e32 v66, v66, v75
	v_fmamk_f32 v68, v42, 0x3df6dbef, v74
	v_sub_f32_e32 v73, v73, v80
	v_add_f32_e32 v65, v65, v70
	v_mul_f32_e32 v70, 0x3df6dbef, v50
	v_add_f32_e32 v66, v66, v67
	v_add_f32_e32 v67, v1, v68
	v_fmamk_f32 v68, v45, 0xbf788fa5, v71
	v_mul_f32_e32 v75, 0x3f6f5d39, v58
	v_add_f32_e32 v65, v65, v73
	v_fmamk_f32 v73, v41, 0x3f7e222b, v70
	v_mul_f32_e32 v76, 0xbf788fa5, v53
	;; [unrolled: 3-line block ×4, first 2 shown]
	v_add_f32_e32 v39, v1, v39
	v_mul_f32_e32 v69, 0x3f52af12, v51
	v_add_f32_e32 v67, v67, v68
	v_fmamk_f32 v68, v48, 0x3f62ad3f, v77
	v_mul_f32_e32 v80, 0xbf52af12, v62
	v_add_f32_e32 v73, v73, v78
	v_fmamk_f32 v78, v44, 0xbf6f5d39, v79
	v_mul_f32_e32 v81, 0x3f62ad3f, v59
	v_add_f32_e32 v38, v0, v38
	v_add_f32_e32 v37, v39, v37
	v_sub_f32_e32 v69, v72, v69
	v_add_f32_e32 v67, v67, v68
	v_fmamk_f32 v68, v54, 0x3f116cb1, v80
	v_add_f32_e32 v72, v73, v78
	v_fmamk_f32 v73, v47, 0xbeedf032, v81
	v_mul_f32_e32 v78, 0x3f116cb1, v61
	v_add_f32_e32 v36, v38, v36
	v_add_f32_e32 v35, v37, v35
	v_mul_f32_e32 v82, 0xbf29c268, v64
	v_add_f32_e32 v67, v67, v68
	v_mul_f32_e32 v83, 0xbf52af12, v52
	v_add_f32_e32 v68, v72, v73
	v_fmamk_f32 v72, v49, 0x3f52af12, v78
	v_mul_f32_e32 v73, 0xbf3f9e67, v63
	v_add_f32_e32 v34, v36, v34
	v_add_f32_e32 v33, v35, v33
	v_fmamk_f32 v84, v55, 0xbf3f9e67, v82
	v_fmamk_f32 v85, v42, 0x3f116cb1, v83
	v_mul_f32_e32 v86, 0xbf6f5d39, v56
	v_add_f32_e32 v72, v68, v72
	v_fmamk_f32 v87, v51, 0x3f29c268, v73
	v_add_f32_e32 v34, v34, v32
	v_add_f32_e32 v33, v33, v31
	v_add_f32_e32 v65, v65, v69
	v_add_f32_e32 v68, v67, v84
	v_add_f32_e32 v69, v1, v85
	v_fmamk_f32 v84, v45, 0xbeb58ec6, v86
	v_add_f32_e32 v67, v72, v87
	v_mul_f32_e32 v72, 0xbe750f2a, v58
	v_mul_f32_e32 v85, 0x3f116cb1, v50
	v_add_f32_e32 v30, v34, v30
	v_add_f32_e32 v29, v33, v29
	;; [unrolled: 1-line block ×3, first 2 shown]
	v_fmamk_f32 v84, v46, 0xbf788fa5, v72
	v_fmamk_f32 v38, v41, 0x3f52af12, v85
	v_mul_f32_e32 v39, 0xbeb58ec6, v53
	v_add_f32_e32 v28, v30, v28
	v_add_f32_e32 v27, v29, v27
	v_mul_f32_e32 v87, 0x3f29c268, v60
	v_add_f32_e32 v69, v69, v84
	v_add_f32_e32 v37, v0, v38
	v_fmamk_f32 v38, v43, 0x3f6f5d39, v39
	v_mul_f32_e32 v84, 0xbf788fa5, v57
	v_add_f32_e32 v26, v28, v26
	v_add_f32_e32 v27, v25, v27
	v_fmamk_f32 v36, v48, 0xbf3f9e67, v87
	v_add_f32_e32 v37, v37, v38
	v_fmamk_f32 v38, v44, 0x3e750f2a, v84
	v_mul_f32_e32 v89, 0xbf3f9e67, v59
	v_add_f32_e32 v23, v23, v27
	v_add_f32_e32 v24, v24, v26
	v_mul_f32_e32 v88, 0x3f7e222b, v62
	v_add_f32_e32 v32, v69, v36
	v_add_f32_e32 v35, v37, v38
	v_fmamk_f32 v36, v47, 0xbf29c268, v89
	v_mul_f32_e32 v37, 0x3df6dbef, v61
	v_add_f32_e32 v7, v7, v23
	v_add_f32_e32 v22, v22, v24
	v_fma_f32 v23, 0x3df6dbef, v42, -v74
	v_fmamk_f32 v38, v54, 0x3df6dbef, v88
	v_mul_f32_e32 v69, 0x3eedf032, v64
	v_mul_f32_e32 v52, 0xbeedf032, v52
	v_add_f32_e32 v35, v35, v36
	v_fmamk_f32 v36, v49, 0xbf7e222b, v37
	v_add_f32_e32 v5, v5, v7
	v_add_f32_e32 v6, v6, v22
	;; [unrolled: 1-line block ×3, first 2 shown]
	v_fma_f32 v22, 0xbf788fa5, v45, -v71
	v_fmac_f32_e32 v70, 0xbf7e222b, v41
	v_add_f32_e32 v32, v32, v38
	v_fmamk_f32 v38, v55, 0x3f62ad3f, v69
	v_fmamk_f32 v90, v42, 0x3f62ad3f, v52
	v_mul_f32_e32 v56, 0xbf52af12, v56
	v_add_f32_e32 v35, v35, v36
	v_mul_f32_e32 v36, 0x3f62ad3f, v63
	v_add_f32_e32 v3, v3, v5
	v_add_f32_e32 v4, v4, v6
	v_add_f32_e32 v5, v7, v22
	v_fma_f32 v6, 0xbeb58ec6, v46, -v75
	v_add_f32_e32 v7, v0, v70
	v_fmac_f32_e32 v76, 0xbe750f2a, v43
	v_add_f32_e32 v32, v32, v38
	v_add_f32_e32 v38, v1, v90
	v_fmamk_f32 v90, v45, 0x3f116cb1, v56
	v_mul_f32_e32 v58, 0xbf7e222b, v58
	v_fmamk_f32 v91, v51, 0xbeedf032, v36
	v_add_f32_e32 v2, v2, v4
	v_fma_f32 v4, 0x3f116cb1, v42, -v83
	v_add_f32_e32 v5, v5, v6
	v_fma_f32 v6, 0x3f62ad3f, v48, -v77
	v_add_f32_e32 v7, v7, v76
	v_fmac_f32_e32 v79, 0x3f6f5d39, v44
	v_add_f32_e32 v34, v38, v90
	v_fmamk_f32 v38, v46, 0x3df6dbef, v58
	v_add_f32_e32 v31, v35, v91
	v_mul_f32_e32 v35, 0x3f62ad3f, v50
	v_add_f32_e32 v4, v1, v4
	v_fma_f32 v22, 0xbeb58ec6, v45, -v86
	v_add_f32_e32 v5, v5, v6
	v_fma_f32 v6, 0x3f116cb1, v54, -v80
	v_add_f32_e32 v7, v7, v79
	v_fmac_f32_e32 v81, 0x3eedf032, v47
	v_add_f32_e32 v30, v34, v38
	v_mul_f32_e32 v33, 0xbf6f5d39, v60
	v_fmamk_f32 v34, v41, 0x3eedf032, v35
	v_mul_f32_e32 v38, 0x3f116cb1, v53
	v_add_f32_e32 v4, v4, v22
	v_fma_f32 v22, 0xbf788fa5, v46, -v72
	v_add_f32_e32 v5, v5, v6
	v_fma_f32 v6, 0xbf3f9e67, v55, -v82
	v_add_f32_e32 v7, v7, v81
	v_fmac_f32_e32 v78, 0xbf52af12, v49
	v_fmamk_f32 v28, v48, 0xbeb58ec6, v33
	v_mul_f32_e32 v29, 0xbf29c268, v62
	v_add_f32_e32 v34, v0, v34
	v_fmamk_f32 v50, v43, 0x3f52af12, v38
	v_mul_f32_e32 v53, 0x3df6dbef, v57
	v_add_f32_e32 v4, v4, v22
	v_fma_f32 v22, 0xbf3f9e67, v48, -v87
	v_add_f32_e32 v5, v5, v6
	v_add_f32_e32 v6, v7, v78
	v_fmac_f32_e32 v73, 0xbf29c268, v51
	v_add_f32_e32 v28, v30, v28
	v_fmamk_f32 v30, v54, 0xbf3f9e67, v29
	v_mul_f32_e32 v57, 0xbe750f2a, v64
	v_add_f32_e32 v34, v34, v50
	v_fmamk_f32 v50, v44, 0x3f7e222b, v53
	v_mul_f32_e32 v59, 0xbeb58ec6, v59
	v_fmac_f32_e32 v85, 0xbf52af12, v41
	v_add_f32_e32 v7, v4, v22
	v_add_f32_e32 v4, v6, v73
	v_fma_f32 v6, 0x3f62ad3f, v42, -v52
	v_fmac_f32_e32 v35, 0xbeedf032, v41
	v_add_f32_e32 v28, v28, v30
	v_fmamk_f32 v30, v55, 0xbf788fa5, v57
	v_add_f32_e32 v34, v34, v50
	v_fmamk_f32 v50, v47, 0x3f6f5d39, v59
	v_mul_f32_e32 v60, 0xbf3f9e67, v61
	v_fma_f32 v22, 0x3df6dbef, v54, -v88
	v_add_f32_e32 v23, v0, v85
	v_fmac_f32_e32 v39, 0xbf6f5d39, v43
	v_add_f32_e32 v1, v1, v6
	v_fma_f32 v6, 0x3f116cb1, v45, -v56
	v_add_f32_e32 v0, v0, v35
	v_fmac_f32_e32 v38, 0xbf52af12, v43
	v_add_f32_e32 v25, v28, v30
	v_add_f32_e32 v26, v34, v50
	v_fmamk_f32 v27, v49, 0x3f29c268, v60
	v_mul_f32_e32 v28, 0xbf788fa5, v63
	v_add_f32_e32 v7, v7, v22
	v_add_f32_e32 v22, v23, v39
	v_fmac_f32_e32 v84, 0xbe750f2a, v44
	v_add_f32_e32 v1, v1, v6
	v_fma_f32 v6, 0x3df6dbef, v46, -v58
	v_add_f32_e32 v0, v0, v38
	v_fmac_f32_e32 v53, 0xbf7e222b, v44
	v_add_f32_e32 v24, v26, v27
	v_fmamk_f32 v26, v51, 0x3e750f2a, v28
	v_add_f32_e32 v22, v22, v84
	v_fmac_f32_e32 v89, 0x3f29c268, v47
	v_add_f32_e32 v1, v1, v6
	v_fma_f32 v6, 0xbeb58ec6, v48, -v33
	v_add_f32_e32 v0, v0, v53
	v_fmac_f32_e32 v59, 0xbf6f5d39, v47
	v_add_f32_e32 v24, v24, v26
	v_add_f32_e32 v22, v22, v89
	v_fmac_f32_e32 v37, 0x3f7e222b, v49
	v_add_f32_e32 v1, v1, v6
	v_fma_f32 v6, 0xbf3f9e67, v54, -v29
	v_add_f32_e32 v0, v0, v59
	v_fmac_f32_e32 v60, 0xbf29c268, v49
	v_mul_u32_u24_e32 v26, 0x68, v11
	v_fma_f32 v23, 0x3f62ad3f, v55, -v69
	v_add_f32_e32 v22, v22, v37
	v_fmac_f32_e32 v36, 0x3eedf032, v51
	v_add_f32_e32 v6, v1, v6
	v_fma_f32 v27, 0xbf788fa5, v55, -v57
	v_add_f32_e32 v29, v0, v60
	v_fmac_f32_e32 v28, 0xbe750f2a, v51
	v_add3_u32 v26, 0, v26, v40
	v_add_f32_e32 v1, v7, v23
	v_add_f32_e32 v0, v22, v36
	;; [unrolled: 1-line block ×4, first 2 shown]
	ds_write2_b64 v26, v[2:3], v[24:25] offset1:1
	ds_write2_b64 v26, v[31:32], v[67:68] offset0:2 offset1:3
	ds_write2_b64 v26, v[65:66], v[14:15] offset0:4 offset1:5
	;; [unrolled: 1-line block ×5, first 2 shown]
	ds_write_b64 v26, v[6:7] offset:96
.LBB0_14:
	s_or_b32 exec_lo, exec_lo, s1
	v_lshlrev_b32_e32 v22, 3, v11
	s_waitcnt lgkmcnt(0)
	s_barrier
	buffer_gl0_inv
	v_cmp_gt_u32_e64 s0, 52, v11
	v_add3_u32 v26, 0, v22, v40
	v_add3_u32 v25, 0, v40, v22
	v_add_nc_u32_e32 v27, 0x800, v26
	ds_read_b64 v[23:24], v25
	ds_read2_b64 v[4:7], v26 offset0:117 offset1:234
	ds_read2_b64 v[0:3], v27 offset0:95 offset1:212
	s_and_saveexec_b32 s1, s0
	s_cbranch_execz .LBB0_16
; %bb.15:
	ds_read2_b64 v[16:19], v26 offset0:65 offset1:182
	ds_read2_b64 v[27:30], v27 offset0:43 offset1:160
	ds_read_b64 v[12:13], v26 offset:4264
	s_waitcnt lgkmcnt(2)
	v_mov_b32_e32 v15, v17
	v_mov_b32_e32 v14, v16
	s_waitcnt lgkmcnt(1)
	v_mov_b32_e32 v17, v30
	v_mov_b32_e32 v16, v29
	;; [unrolled: 1-line block ×4, first 2 shown]
.LBB0_16:
	s_or_b32 exec_lo, exec_lo, s1
	v_and_b32_e32 v27, 0xff, v11
	v_mul_lo_u16 v27, 0x4f, v27
	v_lshrrev_b16 v28, 10, v27
	v_mov_b32_e32 v27, 5
	v_mul_lo_u16 v29, v28, 13
	v_and_b32_e32 v38, 0xffff, v28
	v_mov_b32_e32 v28, 3
	v_sub_nc_u16 v37, v11, v29
	v_mad_u32_u24 v38, 0x208, v38, 0
	v_lshlrev_b32_sdwa v33, v27, v37 dst_sel:DWORD dst_unused:UNUSED_PAD src0_sel:DWORD src1_sel:BYTE_0
	v_lshlrev_b32_sdwa v37, v28, v37 dst_sel:DWORD dst_unused:UNUSED_PAD src0_sel:DWORD src1_sel:BYTE_0
	s_clause 0x1
	global_load_dwordx4 v[29:32], v33, s[8:9]
	global_load_dwordx4 v[33:36], v33, s[8:9] offset:16
	v_add3_u32 v37, v38, v37, v40
	s_waitcnt vmcnt(0) lgkmcnt(0)
	s_barrier
	buffer_gl0_inv
	v_mul_f32_e32 v38, v30, v5
	v_mul_f32_e32 v30, v30, v4
	;; [unrolled: 1-line block ×8, first 2 shown]
	v_fma_f32 v4, v29, v4, -v38
	v_fmac_f32_e32 v30, v29, v5
	v_fma_f32 v5, v31, v6, -v39
	v_fmac_f32_e32 v32, v31, v7
	;; [unrolled: 2-line block ×4, first 2 shown]
	v_add_f32_e32 v0, v23, v4
	v_add_f32_e32 v1, v5, v6
	v_sub_f32_e32 v2, v4, v5
	v_sub_f32_e32 v3, v7, v6
	v_add_f32_e32 v39, v24, v30
	v_add_f32_e32 v41, v32, v34
	;; [unrolled: 1-line block ×4, first 2 shown]
	v_sub_f32_e32 v29, v30, v36
	v_sub_f32_e32 v35, v5, v4
	;; [unrolled: 1-line block ×4, first 2 shown]
	v_add_f32_e32 v5, v0, v5
	v_fma_f32 v0, -0.5, v1, v23
	v_add_f32_e32 v47, v2, v3
	v_add_f32_e32 v3, v39, v32
	v_fma_f32 v1, -0.5, v41, v24
	v_sub_f32_e32 v31, v32, v34
	v_sub_f32_e32 v4, v30, v32
	;; [unrolled: 1-line block ×3, first 2 shown]
	v_fma_f32 v23, -0.5, v33, v23
	v_fmac_f32_e32 v24, -0.5, v45
	v_sub_f32_e32 v46, v34, v36
	v_fmamk_f32 v2, v29, 0x3f737871, v0
	v_add_f32_e32 v34, v3, v34
	v_fmamk_f32 v3, v42, 0xbf737871, v1
	v_sub_f32_e32 v38, v6, v7
	v_sub_f32_e32 v30, v32, v30
	v_add_f32_e32 v32, v4, v44
	v_add_f32_e32 v6, v5, v6
	v_fmamk_f32 v4, v31, 0xbf737871, v23
	v_fmac_f32_e32 v23, 0x3f737871, v31
	v_fmamk_f32 v5, v43, 0x3f737871, v24
	v_fmac_f32_e32 v24, 0xbf737871, v43
	v_fmac_f32_e32 v0, 0xbf737871, v29
	;; [unrolled: 1-line block ×5, first 2 shown]
	v_add_f32_e32 v33, v35, v38
	v_add_f32_e32 v30, v30, v46
	v_fmac_f32_e32 v4, 0x3f167918, v29
	v_fmac_f32_e32 v23, 0xbf167918, v29
	;; [unrolled: 1-line block ×6, first 2 shown]
	v_add_f32_e32 v6, v6, v7
	v_add_f32_e32 v7, v34, v36
	v_fmac_f32_e32 v2, 0x3e9e377a, v47
	v_fmac_f32_e32 v3, 0x3e9e377a, v32
	;; [unrolled: 1-line block ×8, first 2 shown]
	ds_write2_b64 v37, v[6:7], v[2:3] offset1:13
	ds_write2_b64 v37, v[4:5], v[23:24] offset0:26 offset1:39
	ds_write_b64 v37, v[0:1] offset:416
	s_and_saveexec_b32 s1, s0
	s_cbranch_execz .LBB0_18
; %bb.17:
	v_add_nc_u16 v0, v11, 0x41
	v_and_b32_e32 v1, 0xff, v0
	v_mul_lo_u16 v1, 0x4f, v1
	v_lshrrev_b16 v11, 10, v1
	v_mul_lo_u16 v1, v11, 13
	v_and_b32_e32 v11, 0xffff, v11
	v_sub_nc_u16 v23, v0, v1
	v_mad_u32_u24 v11, 0x208, v11, 0
	v_lshlrev_b32_sdwa v4, v27, v23 dst_sel:DWORD dst_unused:UNUSED_PAD src0_sel:DWORD src1_sel:BYTE_0
	v_lshlrev_b32_sdwa v23, v28, v23 dst_sel:DWORD dst_unused:UNUSED_PAD src0_sel:DWORD src1_sel:BYTE_0
	s_clause 0x1
	global_load_dwordx4 v[0:3], v4, s[8:9]
	global_load_dwordx4 v[4:7], v4, s[8:9] offset:16
	v_add3_u32 v11, v11, v23, v40
	s_waitcnt vmcnt(1)
	v_mul_f32_e32 v23, v18, v1
	v_mul_f32_e32 v24, v20, v3
	s_waitcnt vmcnt(0)
	v_mul_f32_e32 v27, v12, v7
	v_mul_f32_e32 v28, v16, v5
	;; [unrolled: 1-line block ×6, first 2 shown]
	v_fmac_f32_e32 v23, v19, v0
	v_fmac_f32_e32 v24, v21, v2
	;; [unrolled: 1-line block ×4, first 2 shown]
	v_fma_f32 v2, v20, v2, -v3
	v_fma_f32 v4, v16, v4, -v5
	;; [unrolled: 1-line block ×4, first 2 shown]
	v_sub_f32_e32 v1, v23, v24
	v_sub_f32_e32 v3, v27, v28
	v_add_f32_e32 v5, v24, v28
	v_add_f32_e32 v17, v2, v4
	v_sub_f32_e32 v7, v0, v2
	v_sub_f32_e32 v16, v6, v4
	;; [unrolled: 1-line block ×3, first 2 shown]
	v_add_f32_e32 v20, v15, v23
	v_add_f32_e32 v21, v14, v0
	v_sub_f32_e32 v29, v24, v23
	v_add_f32_e32 v23, v23, v27
	v_add_f32_e32 v33, v0, v6
	v_sub_f32_e32 v12, v0, v6
	v_sub_f32_e32 v31, v2, v0
	v_add_f32_e32 v34, v1, v3
	v_fma_f32 v1, -0.5, v5, v15
	v_fma_f32 v0, -0.5, v17, v14
	v_sub_f32_e32 v13, v2, v4
	v_sub_f32_e32 v19, v24, v28
	v_add_f32_e32 v16, v7, v16
	v_add_f32_e32 v5, v20, v24
	;; [unrolled: 1-line block ×3, first 2 shown]
	v_fmac_f32_e32 v15, -0.5, v23
	v_fmac_f32_e32 v14, -0.5, v33
	v_fmamk_f32 v3, v12, 0xbf737871, v1
	v_fmamk_f32 v2, v18, 0x3f737871, v0
	v_sub_f32_e32 v30, v28, v27
	v_sub_f32_e32 v32, v4, v6
	v_add_f32_e32 v21, v5, v28
	v_add_f32_e32 v23, v7, v4
	v_fmamk_f32 v5, v13, 0xbf737871, v15
	v_fmac_f32_e32 v15, 0x3f737871, v13
	v_fmamk_f32 v4, v19, 0x3f737871, v14
	v_fmac_f32_e32 v14, 0xbf737871, v19
	v_fmac_f32_e32 v1, 0x3f737871, v12
	v_fmac_f32_e32 v0, 0xbf737871, v18
	v_fmac_f32_e32 v3, 0xbf167918, v13
	v_fmac_f32_e32 v2, 0x3f167918, v19
	v_add_f32_e32 v17, v29, v30
	v_add_f32_e32 v20, v31, v32
	v_fmac_f32_e32 v5, 0x3f167918, v12
	v_fmac_f32_e32 v15, 0xbf167918, v12
	;; [unrolled: 1-line block ×6, first 2 shown]
	v_add_f32_e32 v7, v21, v27
	v_add_f32_e32 v6, v23, v6
	v_fmac_f32_e32 v3, 0x3e9e377a, v34
	v_fmac_f32_e32 v2, 0x3e9e377a, v16
	;; [unrolled: 1-line block ×8, first 2 shown]
	ds_write2_b64 v11, v[6:7], v[2:3] offset1:13
	ds_write2_b64 v11, v[14:15], v[4:5] offset0:26 offset1:39
	ds_write_b64 v11, v[0:1] offset:416
.LBB0_18:
	s_or_b32 exec_lo, exec_lo, s1
	s_waitcnt lgkmcnt(0)
	s_barrier
	buffer_gl0_inv
	s_and_saveexec_b32 s0, vcc_lo
	s_cbranch_execz .LBB0_20
; %bb.19:
	v_mov_b32_e32 v23, 0
	v_add_nc_u32_e32 v20, 0xc00, v26
	v_add_nc_u32_e32 v24, 0x400, v26
	v_lshlrev_b64 v[8:9], 3, v[8:9]
	v_lshlrev_b64 v[0:1], 3, v[22:23]
	v_mov_b32_e32 v11, v23
	v_lshlrev_b64 v[10:11], 3, v[10:11]
	v_add_co_u32 v16, vcc_lo, s8, v0
	v_add_co_ci_u32_e32 v17, vcc_lo, s9, v1, vcc_lo
	v_add_co_u32 v8, vcc_lo, s2, v8
	s_clause 0x3
	global_load_dwordx4 v[0:3], v[16:17], off offset:416
	global_load_dwordx4 v[4:7], v[16:17], off offset:464
	;; [unrolled: 1-line block ×4, first 2 shown]
	ds_read2_b64 v[27:30], v26 offset0:65 offset1:130
	v_add_nc_u32_e32 v26, 0x800, v26
	ds_read2_b64 v[20:23], v20 offset0:71 offset1:136
	ds_read2_b64 v[31:34], v24 offset0:67 offset1:132
	;; [unrolled: 1-line block ×3, first 2 shown]
	v_add_co_ci_u32_e32 v9, vcc_lo, s3, v9, vcc_lo
	v_add_co_u32 v8, vcc_lo, v8, v10
	v_add_co_ci_u32_e32 v9, vcc_lo, v9, v11, vcc_lo
	ds_read_b64 v[10:11], v25
	v_add_co_u32 v24, vcc_lo, 0x800, v8
	v_add_co_ci_u32_e32 v25, vcc_lo, 0, v9, vcc_lo
	s_waitcnt vmcnt(3) lgkmcnt(4)
	v_mul_f32_e32 v26, v1, v28
	s_waitcnt vmcnt(2) lgkmcnt(3)
	v_mul_f32_e32 v39, v7, v23
	v_mul_f32_e32 v42, v3, v30
	;; [unrolled: 1-line block ×3, first 2 shown]
	s_waitcnt vmcnt(1) lgkmcnt(2)
	v_mul_f32_e32 v44, v15, v34
	s_waitcnt vmcnt(0) lgkmcnt(1)
	v_mul_f32_e32 v45, v17, v36
	v_mul_f32_e32 v21, v4, v21
	v_mul_f32_e32 v30, v2, v30
	v_mul_f32_e32 v23, v6, v23
	v_mul_f32_e32 v28, v0, v28
	v_mul_f32_e32 v40, v13, v32
	v_mul_f32_e32 v41, v19, v38
	v_mul_f32_e32 v36, v16, v36
	v_mul_f32_e32 v34, v14, v34
	v_mul_f32_e32 v38, v18, v38
	v_mul_f32_e32 v32, v12, v32
	v_fma_f32 v0, v0, v27, -v26
	v_fma_f32 v6, v6, v22, -v39
	;; [unrolled: 1-line block ×6, first 2 shown]
	v_fmac_f32_e32 v21, v20, v5
	v_fmac_f32_e32 v30, v3, v29
	;; [unrolled: 1-line block ×4, first 2 shown]
	v_fma_f32 v12, v12, v31, -v40
	v_fma_f32 v18, v18, v37, -v41
	v_fmac_f32_e32 v36, v17, v35
	v_fmac_f32_e32 v38, v37, v19
	;; [unrolled: 1-line block ×3, first 2 shown]
	v_sub_f32_e32 v3, v0, v6
	v_sub_f32_e32 v7, v2, v4
	;; [unrolled: 1-line block ×3, first 2 shown]
	v_add_f32_e32 v17, v30, v21
	v_add_f32_e32 v20, v28, v23
	;; [unrolled: 1-line block ×4, first 2 shown]
	v_sub_f32_e32 v5, v12, v18
	v_add_f32_e32 v19, v32, v38
	v_sub_f32_e32 v21, v30, v21
	v_add_f32_e32 v12, v12, v18
	v_mul_f32_e32 v2, 0x3f7c1c5c, v13
	v_add_f32_e32 v30, v20, v17
	v_add_f32_e32 v31, v6, v4
	v_fmac_f32_e32 v34, v15, v33
	v_add_f32_e32 v27, v14, v16
	v_fma_f32 v43, 0xbf248dbb, v7, -v2
	v_add_f32_e32 v2, v19, v30
	v_add_f32_e32 v44, v12, v31
	v_mul_f32_e32 v35, 0xbf248dbb, v13
	v_mul_f32_e32 v40, 0x3f7c1c5c, v7
	v_fmac_f32_e32 v43, 0x3f5db3d7, v5
	v_add_f32_e32 v2, v2, v34
	v_add_f32_e32 v14, v44, v14
	v_sub_f32_e32 v26, v34, v36
	v_add_f32_e32 v15, v34, v36
	v_sub_f32_e32 v22, v28, v23
	v_sub_f32_e32 v23, v32, v38
	v_add_f32_e32 v32, v3, v13
	v_fmac_f32_e32 v35, 0x3f7c1c5c, v3
	v_fmac_f32_e32 v40, 0x3f248dbb, v3
	;; [unrolled: 1-line block ×3, first 2 shown]
	v_add_f32_e32 v3, v2, v36
	v_add_f32_e32 v2, v14, v16
	s_waitcnt lgkmcnt(0)
	v_fmamk_f32 v18, v17, 0x3f441b7d, v11
	v_mul_f32_e32 v28, 0x3f7c1c5c, v26
	v_fmamk_f32 v29, v4, 0x3f441b7d, v10
	v_fmamk_f32 v37, v15, 0x3f441b7d, v11
	v_mul_f32_e32 v38, 0xbf248dbb, v26
	v_fmamk_f32 v39, v27, 0x3f441b7d, v10
	v_add_f32_e32 v0, v12, v10
	v_fmamk_f32 v41, v20, 0x3f441b7d, v11
	v_mul_f32_e32 v42, 0x3f7c1c5c, v21
	v_add_f32_e32 v2, v10, v2
	v_fmac_f32_e32 v10, 0x3f441b7d, v6
	v_fmac_f32_e32 v18, 0x3e31d0d4, v15
	v_fma_f32 v28, 0xbf248dbb, v21, -v28
	v_fmac_f32_e32 v29, 0x3e31d0d4, v27
	v_fmac_f32_e32 v37, 0x3e31d0d4, v20
	;; [unrolled: 1-line block ×7, first 2 shown]
	v_add_f32_e32 v1, v19, v11
	v_add_f32_e32 v33, v22, v26
	;; [unrolled: 1-line block ×4, first 2 shown]
	v_fmac_f32_e32 v18, -0.5, v19
	v_fmac_f32_e32 v28, 0x3f5db3d7, v23
	v_fmac_f32_e32 v29, -0.5, v12
	v_fmac_f32_e32 v35, 0xbf5db3d7, v5
	;; [unrolled: 2-line block ×5, first 2 shown]
	v_fmac_f32_e32 v10, -0.5, v12
	v_sub_f32_e32 v32, v32, v7
	v_sub_f32_e32 v33, v33, v21
	v_fmac_f32_e32 v1, -0.5, v30
	v_fmac_f32_e32 v0, -0.5, v31
	v_fmac_f32_e32 v18, 0xbf708fb2, v20
	v_fmac_f32_e32 v28, 0x3eaf1d44, v22
	v_fmac_f32_e32 v29, 0xbf708fb2, v6
	v_fmac_f32_e32 v35, 0x3eaf1d44, v7
	v_fmac_f32_e32 v37, 0xbf708fb2, v17
	v_fmac_f32_e32 v38, 0x3eaf1d44, v21
	v_fmac_f32_e32 v39, 0xbf708fb2, v4
	v_fmac_f32_e32 v40, 0x3eaf1d44, v13
	v_fmac_f32_e32 v41, 0xbf708fb2, v15
	v_fmac_f32_e32 v42, 0x3eaf1d44, v26
	v_fmac_f32_e32 v10, 0xbf708fb2, v27
	v_mul_f32_e32 v34, 0x3f5db3d7, v32
	v_mul_f32_e32 v30, 0x3f5db3d7, v33
	v_fmac_f32_e32 v1, 0xbf5db3d7, v32
	v_fmac_f32_e32 v0, 0x3f5db3d7, v33
	v_sub_f32_e32 v5, v18, v43
	v_add_f32_e32 v4, v28, v29
	v_add_f32_e32 v3, v11, v3
	v_sub_f32_e32 v12, v37, v35
	v_add_f32_e32 v11, v38, v39
	v_sub_f32_e32 v14, v41, v40
	v_add_f32_e32 v13, v42, v10
	v_fma_f32 v7, 2.0, v34, v1
	v_fma_f32 v6, -2.0, v30, v0
	global_store_dwordx2 v[8:9], v[0:1], off offset:1560
	v_fma_f32 v1, 2.0, v43, v5
	v_fma_f32 v0, -2.0, v28, v4
	global_store_dwordx2 v[8:9], v[2:3], off
	global_store_dwordx2 v[8:9], v[11:12], off offset:1040
	v_add_co_u32 v2, vcc_lo, 0x1000, v8
	v_fma_f32 v16, 2.0, v35, v12
	v_fma_f32 v15, -2.0, v38, v11
	v_fma_f32 v18, 2.0, v40, v14
	v_fma_f32 v17, -2.0, v42, v13
	v_add_co_ci_u32_e32 v3, vcc_lo, 0, v9, vcc_lo
	global_store_dwordx2 v[8:9], v[13:14], off offset:520
	global_store_dwordx2 v[24:25], v[4:5], off offset:32
	global_store_dwordx2 v[24:25], v[0:1], off offset:552
	global_store_dwordx2 v[24:25], v[6:7], off offset:1072
	global_store_dwordx2 v[24:25], v[15:16], off offset:1592
	global_store_dwordx2 v[2:3], v[17:18], off offset:64
.LBB0_20:
	s_endpgm
	.section	.rodata,"a",@progbits
	.p2align	6, 0x0
	.amdhsa_kernel fft_rtc_fwd_len585_factors_13_5_9_wgs_195_tpt_65_sp_ip_CI_unitstride_sbrr_dirReg
		.amdhsa_group_segment_fixed_size 0
		.amdhsa_private_segment_fixed_size 0
		.amdhsa_kernarg_size 88
		.amdhsa_user_sgpr_count 6
		.amdhsa_user_sgpr_private_segment_buffer 1
		.amdhsa_user_sgpr_dispatch_ptr 0
		.amdhsa_user_sgpr_queue_ptr 0
		.amdhsa_user_sgpr_kernarg_segment_ptr 1
		.amdhsa_user_sgpr_dispatch_id 0
		.amdhsa_user_sgpr_flat_scratch_init 0
		.amdhsa_user_sgpr_private_segment_size 0
		.amdhsa_wavefront_size32 1
		.amdhsa_uses_dynamic_stack 0
		.amdhsa_system_sgpr_private_segment_wavefront_offset 0
		.amdhsa_system_sgpr_workgroup_id_x 1
		.amdhsa_system_sgpr_workgroup_id_y 0
		.amdhsa_system_sgpr_workgroup_id_z 0
		.amdhsa_system_sgpr_workgroup_info 0
		.amdhsa_system_vgpr_workitem_id 0
		.amdhsa_next_free_vgpr 92
		.amdhsa_next_free_sgpr 21
		.amdhsa_reserve_vcc 1
		.amdhsa_reserve_flat_scratch 0
		.amdhsa_float_round_mode_32 0
		.amdhsa_float_round_mode_16_64 0
		.amdhsa_float_denorm_mode_32 3
		.amdhsa_float_denorm_mode_16_64 3
		.amdhsa_dx10_clamp 1
		.amdhsa_ieee_mode 1
		.amdhsa_fp16_overflow 0
		.amdhsa_workgroup_processor_mode 1
		.amdhsa_memory_ordered 1
		.amdhsa_forward_progress 0
		.amdhsa_shared_vgpr_count 0
		.amdhsa_exception_fp_ieee_invalid_op 0
		.amdhsa_exception_fp_denorm_src 0
		.amdhsa_exception_fp_ieee_div_zero 0
		.amdhsa_exception_fp_ieee_overflow 0
		.amdhsa_exception_fp_ieee_underflow 0
		.amdhsa_exception_fp_ieee_inexact 0
		.amdhsa_exception_int_div_zero 0
	.end_amdhsa_kernel
	.text
.Lfunc_end0:
	.size	fft_rtc_fwd_len585_factors_13_5_9_wgs_195_tpt_65_sp_ip_CI_unitstride_sbrr_dirReg, .Lfunc_end0-fft_rtc_fwd_len585_factors_13_5_9_wgs_195_tpt_65_sp_ip_CI_unitstride_sbrr_dirReg
                                        ; -- End function
	.section	.AMDGPU.csdata,"",@progbits
; Kernel info:
; codeLenInByte = 6616
; NumSgprs: 23
; NumVgprs: 92
; ScratchSize: 0
; MemoryBound: 0
; FloatMode: 240
; IeeeMode: 1
; LDSByteSize: 0 bytes/workgroup (compile time only)
; SGPRBlocks: 2
; VGPRBlocks: 11
; NumSGPRsForWavesPerEU: 23
; NumVGPRsForWavesPerEU: 92
; Occupancy: 10
; WaveLimiterHint : 1
; COMPUTE_PGM_RSRC2:SCRATCH_EN: 0
; COMPUTE_PGM_RSRC2:USER_SGPR: 6
; COMPUTE_PGM_RSRC2:TRAP_HANDLER: 0
; COMPUTE_PGM_RSRC2:TGID_X_EN: 1
; COMPUTE_PGM_RSRC2:TGID_Y_EN: 0
; COMPUTE_PGM_RSRC2:TGID_Z_EN: 0
; COMPUTE_PGM_RSRC2:TIDIG_COMP_CNT: 0
	.text
	.p2alignl 6, 3214868480
	.fill 48, 4, 3214868480
	.type	__hip_cuid_37ad8cfd30ed894d,@object ; @__hip_cuid_37ad8cfd30ed894d
	.section	.bss,"aw",@nobits
	.globl	__hip_cuid_37ad8cfd30ed894d
__hip_cuid_37ad8cfd30ed894d:
	.byte	0                               ; 0x0
	.size	__hip_cuid_37ad8cfd30ed894d, 1

	.ident	"AMD clang version 19.0.0git (https://github.com/RadeonOpenCompute/llvm-project roc-6.4.0 25133 c7fe45cf4b819c5991fe208aaa96edf142730f1d)"
	.section	".note.GNU-stack","",@progbits
	.addrsig
	.addrsig_sym __hip_cuid_37ad8cfd30ed894d
	.amdgpu_metadata
---
amdhsa.kernels:
  - .args:
      - .actual_access:  read_only
        .address_space:  global
        .offset:         0
        .size:           8
        .value_kind:     global_buffer
      - .offset:         8
        .size:           8
        .value_kind:     by_value
      - .actual_access:  read_only
        .address_space:  global
        .offset:         16
        .size:           8
        .value_kind:     global_buffer
      - .actual_access:  read_only
        .address_space:  global
        .offset:         24
        .size:           8
        .value_kind:     global_buffer
      - .offset:         32
        .size:           8
        .value_kind:     by_value
      - .actual_access:  read_only
        .address_space:  global
        .offset:         40
        .size:           8
        .value_kind:     global_buffer
      - .actual_access:  read_only
        .address_space:  global
        .offset:         48
        .size:           8
        .value_kind:     global_buffer
      - .offset:         56
        .size:           4
        .value_kind:     by_value
      - .actual_access:  read_only
        .address_space:  global
        .offset:         64
        .size:           8
        .value_kind:     global_buffer
      - .actual_access:  read_only
        .address_space:  global
        .offset:         72
        .size:           8
        .value_kind:     global_buffer
      - .address_space:  global
        .offset:         80
        .size:           8
        .value_kind:     global_buffer
    .group_segment_fixed_size: 0
    .kernarg_segment_align: 8
    .kernarg_segment_size: 88
    .language:       OpenCL C
    .language_version:
      - 2
      - 0
    .max_flat_workgroup_size: 195
    .name:           fft_rtc_fwd_len585_factors_13_5_9_wgs_195_tpt_65_sp_ip_CI_unitstride_sbrr_dirReg
    .private_segment_fixed_size: 0
    .sgpr_count:     23
    .sgpr_spill_count: 0
    .symbol:         fft_rtc_fwd_len585_factors_13_5_9_wgs_195_tpt_65_sp_ip_CI_unitstride_sbrr_dirReg.kd
    .uniform_work_group_size: 1
    .uses_dynamic_stack: false
    .vgpr_count:     92
    .vgpr_spill_count: 0
    .wavefront_size: 32
    .workgroup_processor_mode: 1
amdhsa.target:   amdgcn-amd-amdhsa--gfx1030
amdhsa.version:
  - 1
  - 2
...

	.end_amdgpu_metadata
